;; amdgpu-corpus repo=ROCm/rocFFT kind=compiled arch=gfx950 opt=O3
	.text
	.amdgcn_target "amdgcn-amd-amdhsa--gfx950"
	.amdhsa_code_object_version 6
	.protected	bluestein_single_fwd_len98_dim1_dp_op_CI_CI ; -- Begin function bluestein_single_fwd_len98_dim1_dp_op_CI_CI
	.globl	bluestein_single_fwd_len98_dim1_dp_op_CI_CI
	.p2align	8
	.type	bluestein_single_fwd_len98_dim1_dp_op_CI_CI,@function
bluestein_single_fwd_len98_dim1_dp_op_CI_CI: ; @bluestein_single_fwd_len98_dim1_dp_op_CI_CI
; %bb.0:
	s_load_dwordx4 s[12:15], s[0:1], 0x28
	v_mul_u32_u24_e32 v1, 0x124a, v0
	v_lshrrev_b32_e32 v2, 16, v1
	v_mad_u64_u32 v[108:109], s[2:3], s2, 18, v[2:3]
	v_mov_b32_e32 v105, 0
	v_mov_b32_e32 v109, v105
	s_waitcnt lgkmcnt(0)
	v_cmp_gt_u64_e32 vcc, s[12:13], v[108:109]
	s_and_saveexec_b64 s[2:3], vcc
	s_cbranch_execz .LBB0_15
; %bb.1:
	s_load_dwordx4 s[4:7], s[0:1], 0x18
	s_load_dwordx2 s[12:13], s[0:1], 0x0
	v_mul_lo_u16_e32 v1, 14, v2
	v_sub_u16_e32 v104, v0, v1
	v_mov_b32_e32 v4, s14
	s_waitcnt lgkmcnt(0)
	s_load_dwordx4 s[8:11], s[4:5], 0x0
	v_mov_b32_e32 v5, s15
	v_lshlrev_b32_e32 v50, 4, v104
	v_mov_b32_e32 v51, v105
	v_lshl_add_u64 v[106:107], s[12:13], 0, v[50:51]
	s_waitcnt lgkmcnt(0)
	v_mad_u64_u32 v[0:1], s[2:3], s10, v108, 0
	v_mov_b32_e32 v2, v1
	v_mad_u64_u32 v[2:3], s[2:3], s11, v108, v[2:3]
	v_mov_b32_e32 v1, v2
	;; [unrolled: 2-line block ×3, first 2 shown]
	v_mad_u64_u32 v[6:7], s[2:3], s9, v104, v[6:7]
	s_mul_i32 s2, s9, 49
	s_mul_hi_u32 s3, s8, 49
	s_mul_hi_u32 s5, s8, 0xffffffdd
	v_mov_b32_e32 v3, v6
	v_lshl_add_u64 v[0:1], v[0:1], 4, v[4:5]
	s_add_i32 s11, s3, s2
	s_mul_i32 s10, s8, 49
	s_mul_i32 s4, s9, 0xffffffdd
	s_sub_i32 s5, s5, s8
	v_lshl_add_u64 v[4:5], v[2:3], 4, v[0:1]
	s_lshl_b64 s[2:3], s[10:11], 4
	s_add_i32 s9, s5, s4
	s_mulk_i32 s8, 0xffdd
	v_lshl_add_u64 v[6:7], v[4:5], 0, s[2:3]
	global_load_dwordx4 v[26:29], v[4:5], off
	global_load_dwordx4 v[30:33], v[6:7], off
	global_load_dwordx4 v[0:3], v50, s[12:13] offset:784
	global_load_dwordx4 v[20:23], v50, s[12:13]
	s_lshl_b64 s[4:5], s[8:9], 4
	v_lshl_add_u64 v[4:5], v[6:7], 0, s[4:5]
	v_lshl_add_u64 v[12:13], v[4:5], 0, s[2:3]
	global_load_dwordx4 v[8:11], v50, s[12:13] offset:224
	global_load_dwordx4 v[34:37], v[4:5], off
	global_load_dwordx4 v[38:41], v[12:13], off
	s_nop 0
	global_load_dwordx4 v[4:7], v50, s[12:13] offset:1008
	v_lshl_add_u64 v[16:17], v[12:13], 0, s[4:5]
	global_load_dwordx4 v[42:45], v[16:17], off
	global_load_dwordx4 v[12:15], v50, s[12:13] offset:448
	v_lshl_add_u64 v[24:25], v[16:17], 0, s[2:3]
	global_load_dwordx4 v[16:19], v50, s[12:13] offset:1232
	global_load_dwordx4 v[46:49], v[24:25], off
	s_mov_b32 s4, 0x38e38e39
	v_mul_hi_u32 v52, v108, s4
	v_lshrrev_b32_e32 v52, 2, v52
	v_mul_lo_u32 v52, v52, 18
	v_sub_u32_e32 v52, v108, v52
	v_mul_u32_u24_e32 v52, 0x62, v52
	v_lshlrev_b32_e32 v56, 4, v52
	v_add_u32_e32 v109, v50, v56
	s_load_dwordx2 s[2:3], s[0:1], 0x38
	v_cmp_gt_u16_e32 vcc, 7, v104
	s_load_dwordx4 s[4:7], s[6:7], 0x0
	s_waitcnt vmcnt(8)
	v_mul_f64 v[50:51], v[28:29], v[22:23]
	v_mul_f64 v[52:53], v[26:27], v[22:23]
	v_fmac_f64_e32 v[50:51], v[26:27], v[20:21]
	v_fma_f64 v[52:53], v[28:29], v[20:21], -v[52:53]
	v_mul_f64 v[26:27], v[32:33], v[2:3]
	v_mul_f64 v[28:29], v[30:31], v[2:3]
	v_fmac_f64_e32 v[26:27], v[30:31], v[0:1]
	v_fma_f64 v[28:29], v[32:33], v[0:1], -v[28:29]
	s_waitcnt vmcnt(6)
	v_mul_f64 v[30:31], v[36:37], v[10:11]
	v_mul_f64 v[32:33], v[34:35], v[10:11]
	ds_write_b128 v109, v[26:29] offset:784
	s_waitcnt vmcnt(4)
	v_mul_f64 v[26:27], v[40:41], v[6:7]
	v_mul_f64 v[28:29], v[38:39], v[6:7]
	v_fmac_f64_e32 v[30:31], v[34:35], v[8:9]
	v_fma_f64 v[32:33], v[36:37], v[8:9], -v[32:33]
	v_fmac_f64_e32 v[26:27], v[38:39], v[4:5]
	v_fma_f64 v[28:29], v[40:41], v[4:5], -v[28:29]
	ds_write_b128 v109, v[30:33] offset:224
	s_waitcnt vmcnt(2)
	v_mul_f64 v[30:31], v[44:45], v[14:15]
	v_mul_f64 v[32:33], v[42:43], v[14:15]
	ds_write_b128 v109, v[26:29] offset:1008
	s_waitcnt vmcnt(0)
	v_mul_f64 v[26:27], v[48:49], v[18:19]
	v_mul_f64 v[28:29], v[46:47], v[18:19]
	v_fmac_f64_e32 v[30:31], v[42:43], v[12:13]
	v_fma_f64 v[32:33], v[44:45], v[12:13], -v[32:33]
	v_fmac_f64_e32 v[26:27], v[46:47], v[16:17]
	v_fma_f64 v[28:29], v[48:49], v[16:17], -v[28:29]
	ds_write_b128 v109, v[50:53]
	ds_write_b128 v109, v[30:33] offset:448
	ds_write_b128 v109, v[26:29] offset:1232
	s_and_saveexec_b64 s[14:15], vcc
	s_cbranch_execz .LBB0_3
; %bb.2:
	v_lshl_add_u64 v[36:37], s[8:9], 4, v[24:25]
	global_load_dwordx4 v[24:27], v[36:37], off
	global_load_dwordx4 v[28:31], v[106:107], off offset:672
	global_load_dwordx4 v[32:35], v[106:107], off offset:1456
	v_lshl_add_u64 v[36:37], s[10:11], 4, v[36:37]
	global_load_dwordx4 v[36:39], v[36:37], off
	s_waitcnt vmcnt(2)
	v_mul_f64 v[40:41], v[26:27], v[30:31]
	v_mul_f64 v[30:31], v[24:25], v[30:31]
	v_fmac_f64_e32 v[40:41], v[24:25], v[28:29]
	v_fma_f64 v[42:43], v[26:27], v[28:29], -v[30:31]
	s_waitcnt vmcnt(0)
	v_mul_f64 v[24:25], v[38:39], v[34:35]
	v_mul_f64 v[26:27], v[36:37], v[34:35]
	v_fmac_f64_e32 v[24:25], v[36:37], v[32:33]
	v_fma_f64 v[26:27], v[38:39], v[32:33], -v[26:27]
	ds_write_b128 v109, v[40:43] offset:672
	ds_write_b128 v109, v[24:27] offset:1456
.LBB0_3:
	s_or_b64 exec, exec, s[14:15]
	s_waitcnt lgkmcnt(0)
	s_barrier
	ds_read_b128 v[44:47], v109
	ds_read_b128 v[36:39], v109 offset:224
	ds_read_b128 v[52:55], v109 offset:784
	;; [unrolled: 1-line block ×5, first 2 shown]
	s_load_dwordx2 s[0:1], s[0:1], 0x8
                                        ; implicit-def: $vgpr28_vgpr29
                                        ; implicit-def: $vgpr40_vgpr41
	s_and_saveexec_b64 s[8:9], vcc
	s_cbranch_execz .LBB0_5
; %bb.4:
	ds_read_b128 v[28:31], v109 offset:672
	ds_read_b128 v[40:43], v109 offset:1456
.LBB0_5:
	s_or_b64 exec, exec, s[8:9]
	s_waitcnt lgkmcnt(0)
	v_add_f64 v[32:33], v[24:25], -v[32:33]
	v_lshl_add_u64 v[62:63], v[104:105], 0, 42
	v_add_f64 v[52:53], v[44:45], -v[52:53]
	v_add_f64 v[54:55], v[46:47], -v[54:55]
	;; [unrolled: 1-line block ×5, first 2 shown]
	v_fma_f64 v[58:59], v[24:25], 2.0, -v[32:33]
	v_add_f64 v[24:25], v[28:29], -v[40:41]
	v_lshlrev_b16_e32 v40, 1, v104
	v_fma_f64 v[44:45], v[44:45], 2.0, -v[52:53]
	v_fma_f64 v[46:47], v[46:47], 2.0, -v[54:55]
	;; [unrolled: 1-line block ×5, first 2 shown]
	v_add_f64 v[26:27], v[30:31], -v[42:43]
	v_lshl_add_u32 v110, v40, 4, v56
	v_lshl_add_u32 v112, v104, 5, v56
	;; [unrolled: 1-line block ×3, first 2 shown]
	s_barrier
	ds_write_b128 v110, v[44:47]
	ds_write_b128 v110, v[52:55] offset:16
	ds_write_b128 v112, v[36:39] offset:448
	;; [unrolled: 1-line block ×5, first 2 shown]
	s_and_saveexec_b64 s[8:9], vcc
	s_cbranch_execz .LBB0_7
; %bb.6:
	v_fma_f64 v[30:31], v[30:31], 2.0, -v[26:27]
	v_fma_f64 v[28:29], v[28:29], 2.0, -v[24:25]
	ds_write_b128 v105, v[28:31]
	ds_write_b128 v105, v[24:27] offset:16
.LBB0_7:
	s_or_b64 exec, exec, s[8:9]
	v_and_b32_e32 v57, 1, v104
	v_mul_u32_u24_e32 v28, 6, v57
	v_lshlrev_b32_e32 v52, 4, v28
	s_waitcnt lgkmcnt(0)
	s_barrier
	global_load_dwordx4 v[40:43], v52, s[0:1]
	global_load_dwordx4 v[36:39], v52, s[0:1] offset:16
	global_load_dwordx4 v[32:35], v52, s[0:1] offset:32
	;; [unrolled: 1-line block ×5, first 2 shown]
	ds_read_b128 v[52:55], v109
	ds_read_b128 v[58:61], v109 offset:224
	ds_read_b128 v[62:65], v109 offset:448
	;; [unrolled: 1-line block ×6, first 2 shown]
	s_mov_b32 s14, 0x37e14327
	s_mov_b32 s8, 0x36b3c0b5
	;; [unrolled: 1-line block ×20, first 2 shown]
	s_waitcnt lgkmcnt(0)
	s_barrier
	s_movk_i32 s30, 0x60
	s_waitcnt vmcnt(5)
	v_mul_f64 v[82:83], v[60:61], v[42:43]
	v_mul_f64 v[84:85], v[58:59], v[42:43]
	s_waitcnt vmcnt(4)
	v_mul_f64 v[86:87], v[64:65], v[38:39]
	s_waitcnt vmcnt(3)
	v_mul_f64 v[90:91], v[68:69], v[34:35]
	v_mul_f64 v[92:93], v[66:67], v[34:35]
	s_waitcnt vmcnt(1)
	v_mul_f64 v[98:99], v[76:77], v[50:51]
	s_waitcnt vmcnt(0)
	v_mul_f64 v[102:103], v[80:81], v[46:47]
	v_mul_f64 v[88:89], v[62:63], v[38:39]
	;; [unrolled: 1-line block ×5, first 2 shown]
	v_fma_f64 v[58:59], v[58:59], v[40:41], -v[82:83]
	v_fmac_f64_e32 v[84:85], v[60:61], v[40:41]
	v_fma_f64 v[60:61], v[62:63], v[36:37], -v[86:87]
	v_fma_f64 v[62:63], v[66:67], v[32:33], -v[90:91]
	v_fmac_f64_e32 v[92:93], v[68:69], v[32:33]
	v_fma_f64 v[66:67], v[74:75], v[48:49], -v[98:99]
	v_fma_f64 v[68:69], v[78:79], v[44:45], -v[102:103]
	v_mul_f64 v[96:97], v[70:71], v[30:31]
	v_fmac_f64_e32 v[88:89], v[64:65], v[36:37]
	v_fma_f64 v[64:65], v[70:71], v[28:29], -v[94:95]
	v_fmac_f64_e32 v[100:101], v[76:77], v[48:49]
	v_fmac_f64_e32 v[114:115], v[80:81], v[44:45]
	v_add_f64 v[70:71], v[58:59], v[68:69]
	v_add_f64 v[74:75], v[60:61], v[66:67]
	v_fmac_f64_e32 v[96:97], v[72:73], v[28:29]
	v_add_f64 v[72:73], v[84:85], v[114:115]
	v_add_f64 v[76:77], v[88:89], v[100:101]
	;; [unrolled: 1-line block ×4, first 2 shown]
	v_add_f64 v[58:59], v[58:59], -v[68:69]
	v_add_f64 v[68:69], v[84:85], -v[114:115]
	v_add_f64 v[80:81], v[92:93], v[96:97]
	v_add_f64 v[84:85], v[76:77], v[72:73]
	v_add_f64 v[86:87], v[74:75], -v[70:71]
	v_add_f64 v[70:71], v[70:71], -v[78:79]
	;; [unrolled: 1-line block ×3, first 2 shown]
	v_add_f64 v[78:79], v[78:79], v[82:83]
	v_add_f64 v[60:61], v[60:61], -v[66:67]
	v_add_f64 v[66:67], v[88:89], -v[100:101]
	;; [unrolled: 1-line block ×5, first 2 shown]
	v_add_f64 v[80:81], v[80:81], v[84:85]
	v_add_f64 v[52:53], v[52:53], v[78:79]
	;; [unrolled: 1-line block ×3, first 2 shown]
	v_mov_b64_e32 v[98:99], v[52:53]
	v_mul_f64 v[70:71], v[70:71], s[14:15]
	v_mul_f64 v[72:73], v[72:73], s[14:15]
	v_mul_f64 v[82:83], v[74:75], s[8:9]
	v_mul_f64 v[84:85], v[76:77], s[8:9]
	v_fmac_f64_e32 v[98:99], s[26:27], v[78:79]
	v_mov_b64_e32 v[78:79], v[54:55]
	v_add_f64 v[62:63], v[64:65], -v[62:63]
	v_add_f64 v[64:65], v[96:97], -v[92:93]
	v_fmac_f64_e32 v[78:79], s[26:27], v[80:81]
	v_fma_f64 v[80:81], v[86:87], s[20:21], -v[82:83]
	v_fma_f64 v[82:83], v[88:89], s[20:21], -v[84:85]
	;; [unrolled: 1-line block ×3, first 2 shown]
	v_fmac_f64_e32 v[70:71], s[8:9], v[74:75]
	v_fma_f64 v[74:75], v[88:89], s[22:23], -v[72:73]
	v_fmac_f64_e32 v[72:73], s[8:9], v[76:77]
	v_add_f64 v[90:91], v[62:63], v[60:61]
	v_add_f64 v[92:93], v[64:65], v[66:67]
	v_add_f64 v[94:95], v[62:63], -v[60:61]
	v_add_f64 v[96:97], v[64:65], -v[66:67]
	;; [unrolled: 1-line block ×4, first 2 shown]
	v_add_f64 v[100:101], v[72:73], v[78:79]
	v_add_f64 v[72:73], v[82:83], v[78:79]
	v_lshrrev_b32_e32 v82, 1, v104
	v_add_f64 v[62:63], v[58:59], -v[62:63]
	v_add_f64 v[64:65], v[68:69], -v[64:65]
	v_add_f64 v[58:59], v[90:91], v[58:59]
	v_add_f64 v[68:69], v[92:93], v[68:69]
	v_mul_f64 v[90:91], v[94:95], s[10:11]
	v_mul_f64 v[92:93], v[96:97], s[10:11]
	;; [unrolled: 1-line block ×4, first 2 shown]
	v_mul_u32_u24_e32 v82, 14, v82
	v_fma_f64 v[76:77], v[60:61], s[16:17], -v[90:91]
	v_fmac_f64_e32 v[90:91], s[24:25], v[62:63]
	v_fma_f64 v[86:87], v[66:67], s[16:17], -v[92:93]
	v_fmac_f64_e32 v[92:93], s[24:25], v[64:65]
	v_fma_f64 v[88:89], v[62:63], s[28:29], -v[94:95]
	v_fma_f64 v[94:95], v[64:65], s[28:29], -v[96:97]
	v_or_b32_e32 v57, v82, v57
	v_add_f64 v[96:97], v[70:71], v[98:99]
	v_add_f64 v[70:71], v[80:81], v[98:99]
	;; [unrolled: 1-line block ×4, first 2 shown]
	v_fmac_f64_e32 v[90:91], s[18:19], v[58:59]
	v_fmac_f64_e32 v[92:93], s[18:19], v[68:69]
	;; [unrolled: 1-line block ×6, first 2 shown]
	v_lshl_add_u32 v111, v57, 4, v56
	v_add_f64 v[58:59], v[92:93], v[96:97]
	v_add_f64 v[60:61], v[100:101], -v[90:91]
	v_add_f64 v[62:63], v[94:95], v[80:81]
	v_add_f64 v[64:65], v[78:79], -v[88:89]
	v_add_f64 v[66:67], v[70:71], -v[86:87]
	v_add_f64 v[68:69], v[76:77], v[72:73]
	v_add_f64 v[70:71], v[86:87], v[70:71]
	v_add_f64 v[72:73], v[72:73], -v[76:77]
	v_add_f64 v[74:75], v[80:81], -v[94:95]
	v_add_f64 v[76:77], v[88:89], v[78:79]
	v_add_f64 v[78:79], v[96:97], -v[92:93]
	v_add_f64 v[80:81], v[90:91], v[100:101]
	ds_write_b128 v111, v[52:55]
	ds_write_b128 v111, v[58:61] offset:32
	ds_write_b128 v111, v[62:65] offset:64
	;; [unrolled: 1-line block ×6, first 2 shown]
	v_mov_b64_e32 v[52:53], s[0:1]
	v_mad_u64_u32 v[76:77], s[0:1], v104, s30, v[52:53]
	s_waitcnt lgkmcnt(0)
	s_barrier
	global_load_dwordx4 v[64:67], v[76:77], off offset:192
	global_load_dwordx4 v[60:63], v[76:77], off offset:208
	;; [unrolled: 1-line block ×6, first 2 shown]
	ds_read_b128 v[76:79], v109
	ds_read_b128 v[80:83], v109 offset:224
	ds_read_b128 v[84:87], v109 offset:448
	;; [unrolled: 1-line block ×6, first 2 shown]
	s_add_u32 s0, s12, 0x620
	s_addc_u32 s1, s13, 0
	s_waitcnt vmcnt(5) lgkmcnt(5)
	v_mul_f64 v[114:115], v[82:83], v[66:67]
	v_fma_f64 v[114:115], v[80:81], v[64:65], -v[114:115]
	v_mul_f64 v[80:81], v[80:81], v[66:67]
	v_fmac_f64_e32 v[80:81], v[82:83], v[64:65]
	s_waitcnt vmcnt(4) lgkmcnt(4)
	v_mul_f64 v[82:83], v[86:87], v[62:63]
	v_fma_f64 v[82:83], v[84:85], v[60:61], -v[82:83]
	v_mul_f64 v[84:85], v[84:85], v[62:63]
	v_fmac_f64_e32 v[84:85], v[86:87], v[60:61]
	;; [unrolled: 5-line block ×6, first 2 shown]
	v_add_f64 v[102:103], v[114:115], v[98:99]
	v_add_f64 v[116:117], v[80:81], v[100:101]
	v_add_f64 v[100:101], v[80:81], -v[100:101]
	v_add_f64 v[80:81], v[82:83], v[94:95]
	v_add_f64 v[98:99], v[114:115], -v[98:99]
	v_add_f64 v[114:115], v[84:85], v[96:97]
	v_add_f64 v[94:95], v[82:83], -v[94:95]
	v_add_f64 v[82:83], v[86:87], v[90:91]
	v_add_f64 v[86:87], v[90:91], -v[86:87]
	v_add_f64 v[90:91], v[80:81], v[102:103]
	v_add_f64 v[84:85], v[84:85], -v[96:97]
	v_add_f64 v[96:97], v[88:89], v[92:93]
	v_add_f64 v[88:89], v[92:93], -v[88:89]
	v_add_f64 v[92:93], v[114:115], v[116:117]
	v_add_f64 v[90:91], v[82:83], v[90:91]
	v_add_f64 v[118:119], v[80:81], -v[102:103]
	v_add_f64 v[120:121], v[114:115], -v[116:117]
	;; [unrolled: 1-line block ×5, first 2 shown]
	v_add_f64 v[124:125], v[86:87], v[94:95]
	v_add_f64 v[92:93], v[96:97], v[92:93]
	;; [unrolled: 1-line block ×4, first 2 shown]
	v_add_f64 v[114:115], v[96:97], -v[114:115]
	v_add_f64 v[82:83], v[78:79], v[92:93]
	v_add_f64 v[78:79], v[86:87], -v[94:95]
	v_add_f64 v[86:87], v[98:99], -v[86:87]
	;; [unrolled: 1-line block ×3, first 2 shown]
	v_add_f64 v[96:97], v[124:125], v[98:99]
	v_add_f64 v[98:99], v[88:89], -v[84:85]
	v_add_f64 v[88:89], v[100:101], -v[88:89]
	;; [unrolled: 1-line block ×3, first 2 shown]
	v_add_f64 v[76:77], v[76:77], v[100:101]
	v_mul_f64 v[100:101], v[102:103], s[14:15]
	v_mul_f64 v[102:103], v[116:117], s[14:15]
	v_mov_b64_e32 v[116:117], v[80:81]
	v_fmac_f64_e32 v[116:117], s[26:27], v[90:91]
	v_mov_b64_e32 v[90:91], v[82:83]
	v_fmac_f64_e32 v[90:91], s[26:27], v[92:93]
	v_mul_f64 v[92:93], v[122:123], s[8:9]
	v_fma_f64 v[122:123], s[8:9], v[122:123], v[100:101]
	v_fma_f64 v[92:93], v[118:119], s[20:21], -v[92:93]
	v_fma_f64 v[100:101], v[118:119], s[22:23], -v[100:101]
	v_mul_f64 v[118:119], v[114:115], s[8:9]
	v_mul_f64 v[78:79], v[78:79], s[10:11]
	;; [unrolled: 1-line block ×3, first 2 shown]
	v_fma_f64 v[98:99], v[120:121], s[20:21], -v[118:119]
	v_fma_f64 v[118:119], v[120:121], s[22:23], -v[102:103]
	v_fmac_f64_e32 v[102:103], s[8:9], v[114:115]
	v_mul_f64 v[114:115], v[94:95], s[16:17]
	v_fma_f64 v[94:95], v[94:95], s[16:17], -v[78:79]
	v_fma_f64 v[78:79], s[24:25], v[86:87], v[78:79]
	v_fma_f64 v[114:115], v[86:87], s[28:29], -v[114:115]
	v_mul_f64 v[86:87], v[84:85], s[16:17]
	v_fma_f64 v[120:121], v[84:85], s[16:17], -v[124:125]
	v_fmac_f64_e32 v[124:125], s[24:25], v[88:89]
	v_fma_f64 v[126:127], v[88:89], s[28:29], -v[86:87]
	v_add_f64 v[122:123], v[122:123], v[116:117]
	v_fmac_f64_e32 v[124:125], s[18:19], v[76:77]
	v_add_f64 v[128:129], v[102:103], v[90:91]
	v_add_f64 v[92:93], v[92:93], v[116:117]
	v_add_f64 v[98:99], v[98:99], v[90:91]
	v_add_f64 v[100:101], v[100:101], v[116:117]
	v_add_f64 v[102:103], v[118:119], v[90:91]
	v_fmac_f64_e32 v[78:79], s[18:19], v[96:97]
	v_fmac_f64_e32 v[94:95], s[18:19], v[96:97]
	;; [unrolled: 1-line block ×5, first 2 shown]
	v_add_f64 v[84:85], v[124:125], v[122:123]
	v_add_f64 v[86:87], v[128:129], -v[78:79]
	v_add_f64 v[88:89], v[92:93], -v[120:121]
	v_add_f64 v[90:91], v[94:95], v[98:99]
	v_add_f64 v[92:93], v[120:121], v[92:93]
	v_add_f64 v[94:95], v[98:99], -v[94:95]
	v_add_f64 v[96:97], v[126:127], v[100:101]
	v_add_f64 v[98:99], v[102:103], -v[114:115]
	v_add_f64 v[100:101], v[100:101], -v[126:127]
	v_add_f64 v[102:103], v[114:115], v[102:103]
	v_add_f64 v[76:77], v[122:123], -v[124:125]
	v_add_f64 v[78:79], v[78:79], v[128:129]
	ds_write_b128 v109, v[80:83]
	ds_write_b128 v109, v[84:87] offset:224
	ds_write_b128 v109, v[96:99] offset:448
	;; [unrolled: 1-line block ×6, first 2 shown]
	s_waitcnt lgkmcnt(0)
	s_barrier
	global_load_dwordx4 v[82:85], v[106:107], off offset:1568
	v_lshlrev_b32_e32 v80, 4, v104
	global_load_dwordx4 v[86:89], v80, s[0:1] offset:784
	ds_read_b128 v[90:93], v109
	ds_read_b128 v[94:97], v109 offset:224
	ds_read_b128 v[118:121], v109 offset:784
	global_load_dwordx4 v[98:101], v80, s[0:1] offset:224
	s_waitcnt vmcnt(2) lgkmcnt(2)
	v_mul_f64 v[102:103], v[92:93], v[84:85]
	v_mul_f64 v[116:117], v[90:91], v[84:85]
	v_fma_f64 v[114:115], v[90:91], v[82:83], -v[102:103]
	v_fmac_f64_e32 v[116:117], v[92:93], v[82:83]
	global_load_dwordx4 v[82:85], v80, s[0:1] offset:1008
	ds_read_b128 v[90:93], v109 offset:448
	s_waitcnt vmcnt(2) lgkmcnt(1)
	v_mul_f64 v[102:103], v[120:121], v[88:89]
	v_mul_f64 v[124:125], v[118:119], v[88:89]
	v_fma_f64 v[122:123], v[118:119], v[86:87], -v[102:103]
	v_fmac_f64_e32 v[124:125], v[120:121], v[86:87]
	global_load_dwordx4 v[86:89], v80, s[0:1] offset:448
	global_load_dwordx4 v[118:121], v80, s[0:1] offset:1232
	ds_write_b128 v109, v[114:117]
	ds_write_b128 v109, v[122:125] offset:784
	ds_read_b128 v[122:125], v109 offset:1008
	s_waitcnt vmcnt(3)
	v_mul_f64 v[102:103], v[96:97], v[100:101]
	v_mul_f64 v[116:117], v[94:95], v[100:101]
	v_fma_f64 v[114:115], v[94:95], v[98:99], -v[102:103]
	v_fmac_f64_e32 v[116:117], v[96:97], v[98:99]
	ds_read_b128 v[94:97], v109 offset:1232
	ds_write_b128 v109, v[114:117] offset:224
	s_waitcnt vmcnt(2) lgkmcnt(2)
	v_mul_f64 v[98:99], v[124:125], v[84:85]
	v_mul_f64 v[100:101], v[122:123], v[84:85]
	v_fma_f64 v[98:99], v[122:123], v[82:83], -v[98:99]
	v_fmac_f64_e32 v[100:101], v[124:125], v[82:83]
	ds_write_b128 v109, v[98:101] offset:1008
	s_waitcnt vmcnt(1)
	v_mul_f64 v[82:83], v[92:93], v[88:89]
	v_mul_f64 v[84:85], v[90:91], v[88:89]
	v_fma_f64 v[82:83], v[90:91], v[86:87], -v[82:83]
	v_fmac_f64_e32 v[84:85], v[92:93], v[86:87]
	ds_write_b128 v109, v[82:85] offset:448
	s_waitcnt vmcnt(0) lgkmcnt(3)
	v_mul_f64 v[82:83], v[96:97], v[120:121]
	v_mul_f64 v[84:85], v[94:95], v[120:121]
	v_fma_f64 v[82:83], v[94:95], v[118:119], -v[82:83]
	v_fmac_f64_e32 v[84:85], v[96:97], v[118:119]
	ds_write_b128 v109, v[82:85] offset:1232
	s_and_saveexec_b64 s[8:9], vcc
	s_cbranch_execz .LBB0_9
; %bb.8:
	v_mov_b32_e32 v81, 0
	v_lshl_add_u64 v[88:89], s[0:1], 0, v[80:81]
	global_load_dwordx4 v[80:83], v[88:89], off offset:672
	global_load_dwordx4 v[84:87], v[88:89], off offset:1456
	ds_read_b128 v[88:91], v109 offset:672
	ds_read_b128 v[92:95], v109 offset:1456
	s_waitcnt vmcnt(1) lgkmcnt(1)
	v_mul_f64 v[96:97], v[90:91], v[82:83]
	v_mul_f64 v[98:99], v[88:89], v[82:83]
	s_waitcnt vmcnt(0) lgkmcnt(0)
	v_mul_f64 v[100:101], v[94:95], v[86:87]
	v_mul_f64 v[82:83], v[92:93], v[86:87]
	v_fma_f64 v[96:97], v[88:89], v[80:81], -v[96:97]
	v_fmac_f64_e32 v[98:99], v[90:91], v[80:81]
	v_fma_f64 v[80:81], v[92:93], v[84:85], -v[100:101]
	v_fmac_f64_e32 v[82:83], v[94:95], v[84:85]
	ds_write_b128 v109, v[96:99] offset:672
	ds_write_b128 v109, v[80:83] offset:1456
.LBB0_9:
	s_or_b64 exec, exec, s[8:9]
	s_waitcnt lgkmcnt(0)
	s_barrier
	ds_read_b128 v[92:95], v109
	ds_read_b128 v[88:91], v109 offset:224
	ds_read_b128 v[100:103], v109 offset:784
	;; [unrolled: 1-line block ×5, first 2 shown]
	v_add_u32_e32 v113, 0x1c0, v112
	v_add_u32_e32 v112, 0x380, v112
	s_and_saveexec_b64 s[0:1], vcc
	s_cbranch_execz .LBB0_11
; %bb.10:
	ds_read_b128 v[76:79], v109 offset:672
	ds_read_b128 v[24:27], v109 offset:1456
.LBB0_11:
	s_or_b64 exec, exec, s[0:1]
	s_waitcnt lgkmcnt(3)
	v_add_f64 v[100:101], v[92:93], -v[100:101]
	v_add_f64 v[102:103], v[94:95], -v[102:103]
	v_fma_f64 v[92:93], v[92:93], 2.0, -v[100:101]
	v_fma_f64 v[94:95], v[94:95], 2.0, -v[102:103]
	s_waitcnt lgkmcnt(1)
	v_add_f64 v[96:97], v[88:89], -v[96:97]
	v_add_f64 v[98:99], v[90:91], -v[98:99]
	s_waitcnt lgkmcnt(0)
	v_add_f64 v[84:85], v[80:81], -v[84:85]
	v_add_f64 v[86:87], v[82:83], -v[86:87]
	v_fma_f64 v[88:89], v[88:89], 2.0, -v[96:97]
	v_fma_f64 v[90:91], v[90:91], 2.0, -v[98:99]
	;; [unrolled: 1-line block ×4, first 2 shown]
	s_barrier
	ds_write_b128 v110, v[92:95]
	ds_write_b128 v110, v[100:103] offset:16
	ds_write_b128 v113, v[88:91]
	ds_write_b128 v113, v[96:99] offset:16
	;; [unrolled: 2-line block ×3, first 2 shown]
	s_and_saveexec_b64 s[0:1], vcc
	s_cbranch_execz .LBB0_13
; %bb.12:
	v_add_f64 v[26:27], v[78:79], -v[26:27]
	v_add_f64 v[24:25], v[76:77], -v[24:25]
	v_fma_f64 v[78:79], v[78:79], 2.0, -v[26:27]
	v_fma_f64 v[76:77], v[76:77], 2.0, -v[24:25]
	ds_write_b128 v105, v[76:79]
	ds_write_b128 v105, v[24:27] offset:16
.LBB0_13:
	s_or_b64 exec, exec, s[0:1]
	s_waitcnt lgkmcnt(0)
	s_barrier
	ds_read_b128 v[78:81], v109
	ds_read_b128 v[82:85], v109 offset:224
	ds_read_b128 v[86:89], v109 offset:448
	;; [unrolled: 1-line block ×6, first 2 shown]
	s_waitcnt lgkmcnt(5)
	v_mul_f64 v[102:103], v[42:43], v[84:85]
	v_mul_f64 v[42:43], v[42:43], v[82:83]
	v_fmac_f64_e32 v[102:103], v[40:41], v[82:83]
	v_fma_f64 v[40:41], v[40:41], v[84:85], -v[42:43]
	s_waitcnt lgkmcnt(4)
	v_mul_f64 v[42:43], v[38:39], v[88:89]
	v_mul_f64 v[38:39], v[38:39], v[86:87]
	v_fmac_f64_e32 v[42:43], v[36:37], v[86:87]
	v_fma_f64 v[36:37], v[36:37], v[88:89], -v[38:39]
	;; [unrolled: 5-line block ×6, first 2 shown]
	v_add_f64 v[46:47], v[102:103], v[50:51]
	v_add_f64 v[82:83], v[40:41], v[44:45]
	v_add_f64 v[40:41], v[40:41], -v[44:45]
	v_add_f64 v[44:45], v[42:43], v[30:31]
	v_add_f64 v[84:85], v[36:37], v[48:49]
	v_add_f64 v[30:31], v[42:43], -v[30:31]
	v_add_f64 v[36:37], v[36:37], -v[48:49]
	v_add_f64 v[42:43], v[38:39], v[34:35]
	v_add_f64 v[48:49], v[32:33], v[28:29]
	v_add_f64 v[28:29], v[28:29], -v[32:33]
	v_add_f64 v[32:33], v[44:45], v[46:47]
	v_mad_u64_u32 v[26:27], s[0:1], s6, v108, 0
	v_add_f64 v[34:35], v[34:35], -v[38:39]
	v_add_f64 v[38:39], v[84:85], v[82:83]
	v_add_f64 v[32:33], v[42:43], v[32:33]
	s_mov_b32 s10, 0xe976ee23
	v_mov_b32_e32 v24, s2
	v_mov_b32_e32 v25, s3
	v_add_f64 v[50:51], v[102:103], -v[50:51]
	v_add_f64 v[92:93], v[28:29], v[36:37]
	v_add_f64 v[94:95], v[34:35], -v[30:31]
	v_add_f64 v[96:97], v[28:29], -v[36:37]
	;; [unrolled: 1-line block ×3, first 2 shown]
	v_add_f64 v[38:39], v[48:49], v[38:39]
	v_add_f64 v[28:29], v[78:79], v[32:33]
	s_mov_b32 s2, 0x37e14327
	s_mov_b32 s0, 0x36b3c0b5
	;; [unrolled: 1-line block ×5, first 2 shown]
	v_add_f64 v[86:87], v[44:45], -v[46:47]
	v_add_f64 v[88:89], v[84:85], -v[82:83]
	;; [unrolled: 1-line block ×6, first 2 shown]
	v_add_f64 v[90:91], v[34:35], v[30:31]
	v_add_f64 v[100:101], v[30:31], -v[50:51]
	v_add_f64 v[36:37], v[36:37], -v[40:41]
	v_add_f64 v[30:31], v[80:81], v[38:39]
	s_mov_b32 s3, 0x3fe948f6
	s_mov_b32 s1, 0x3fac98ee
	v_mul_f64 v[80:81], v[94:95], s[10:11]
	s_mov_b32 s9, 0xbfebfeb5
	s_mov_b32 s13, 0xbff2aaaa
	v_mov_b64_e32 v[94:95], v[28:29]
	s_mov_b32 s14, 0x5476071b
	s_mov_b32 s18, 0xb247c609
	v_add_f64 v[34:35], v[50:51], -v[34:35]
	v_add_f64 v[42:43], v[90:91], v[50:51]
	v_add_f64 v[40:41], v[92:93], v[40:41]
	v_mul_f64 v[46:47], v[46:47], s[2:3]
	v_mul_f64 v[48:49], v[82:83], s[2:3]
	;; [unrolled: 1-line block ×7, first 2 shown]
	v_fmac_f64_e32 v[94:95], s[12:13], v[32:33]
	v_mov_b64_e32 v[32:33], v[30:31]
	s_mov_b32 s15, 0x3fe77f67
	s_mov_b32 s17, 0xbfe77f67
	;; [unrolled: 1-line block ×7, first 2 shown]
	v_fmac_f64_e32 v[32:33], s[12:13], v[38:39]
	v_fma_f64 v[38:39], v[86:87], s[14:15], -v[50:51]
	v_fma_f64 v[50:51], v[88:89], s[14:15], -v[78:79]
	;; [unrolled: 1-line block ×3, first 2 shown]
	v_fmac_f64_e32 v[46:47], s[0:1], v[44:45]
	v_fma_f64 v[44:45], v[88:89], s[16:17], -v[48:49]
	v_fmac_f64_e32 v[48:49], s[0:1], v[84:85]
	v_fma_f64 v[84:85], v[100:101], s[8:9], -v[80:81]
	v_fmac_f64_e32 v[80:81], s[18:19], v[34:35]
	v_fma_f64 v[86:87], v[36:37], s[8:9], -v[82:83]
	v_fmac_f64_e32 v[82:83], s[18:19], v[98:99]
	v_fma_f64 v[88:89], v[34:35], s[22:23], -v[90:91]
	v_fma_f64 v[90:91], v[98:99], s[22:23], -v[92:93]
	s_mov_b32 s21, 0xbfdc38aa
	v_add_f64 v[92:93], v[46:47], v[94:95]
	v_add_f64 v[96:97], v[48:49], v[32:33]
	;; [unrolled: 1-line block ×6, first 2 shown]
	v_fmac_f64_e32 v[80:81], s[20:21], v[42:43]
	v_fmac_f64_e32 v[82:83], s[20:21], v[40:41]
	;; [unrolled: 1-line block ×6, first 2 shown]
	v_add_f64 v[32:33], v[82:83], v[92:93]
	v_add_f64 v[34:35], v[96:97], -v[80:81]
	v_add_f64 v[36:37], v[90:91], v[50:51]
	v_add_f64 v[38:39], v[78:79], -v[88:89]
	v_add_f64 v[40:41], v[46:47], -v[86:87]
	v_add_f64 v[42:43], v[84:85], v[48:49]
	v_add_f64 v[44:45], v[86:87], v[46:47]
	v_add_f64 v[46:47], v[48:49], -v[84:85]
	v_add_f64 v[48:49], v[50:51], -v[90:91]
	v_add_f64 v[50:51], v[88:89], v[78:79]
	v_add_f64 v[78:79], v[92:93], -v[82:83]
	v_add_f64 v[80:81], v[80:81], v[96:97]
	s_barrier
	ds_write_b128 v111, v[28:31]
	ds_write_b128 v111, v[32:35] offset:32
	ds_write_b128 v111, v[36:39] offset:64
	;; [unrolled: 1-line block ×6, first 2 shown]
	s_waitcnt lgkmcnt(0)
	s_barrier
	ds_read_b128 v[28:31], v109
	ds_read_b128 v[32:35], v109 offset:224
	ds_read_b128 v[36:39], v109 offset:448
	ds_read_b128 v[40:43], v109 offset:672
	ds_read_b128 v[44:47], v109 offset:896
	ds_read_b128 v[48:51], v109 offset:1120
	ds_read_b128 v[78:81], v109 offset:1344
	s_waitcnt lgkmcnt(5)
	v_mul_f64 v[82:83], v[66:67], v[34:35]
	v_fmac_f64_e32 v[82:83], v[64:65], v[32:33]
	v_mul_f64 v[32:33], v[66:67], v[32:33]
	v_fma_f64 v[32:33], v[64:65], v[34:35], -v[32:33]
	s_waitcnt lgkmcnt(4)
	v_mul_f64 v[34:35], v[62:63], v[38:39]
	v_fmac_f64_e32 v[34:35], v[60:61], v[36:37]
	v_mul_f64 v[36:37], v[62:63], v[36:37]
	v_fma_f64 v[36:37], v[60:61], v[38:39], -v[36:37]
	;; [unrolled: 5-line block ×5, first 2 shown]
	s_waitcnt lgkmcnt(0)
	v_mul_f64 v[50:51], v[70:71], v[80:81]
	v_mul_f64 v[52:53], v[70:71], v[78:79]
	v_fmac_f64_e32 v[50:51], v[68:69], v[78:79]
	v_fma_f64 v[52:53], v[68:69], v[80:81], -v[52:53]
	v_add_f64 v[54:55], v[82:83], v[50:51]
	v_add_f64 v[56:57], v[32:33], v[52:53]
	v_add_f64 v[32:33], v[32:33], -v[52:53]
	v_add_f64 v[52:53], v[34:35], v[46:47]
	v_add_f64 v[58:59], v[36:37], v[48:49]
	v_add_f64 v[34:35], v[34:35], -v[46:47]
	v_add_f64 v[46:47], v[38:39], v[42:43]
	v_add_f64 v[38:39], v[42:43], -v[38:39]
	;; [unrolled: 2-line block ×4, first 2 shown]
	v_add_f64 v[44:45], v[58:59], v[56:57]
	v_add_f64 v[42:43], v[46:47], v[42:43]
	v_add_f64 v[50:51], v[82:83], -v[50:51]
	v_add_f64 v[44:45], v[48:49], v[44:45]
	v_add_f64 v[28:29], v[28:29], v[42:43]
	v_add_f64 v[60:61], v[52:53], -v[54:55]
	v_add_f64 v[62:63], v[58:59], -v[56:57]
	v_add_f64 v[54:55], v[54:55], -v[46:47]
	v_add_f64 v[56:57], v[56:57], -v[48:49]
	v_add_f64 v[52:53], v[46:47], -v[52:53]
	v_add_f64 v[58:59], v[48:49], -v[58:59]
	v_add_f64 v[64:65], v[38:39], v[34:35]
	v_add_f64 v[66:67], v[40:41], v[36:37]
	v_add_f64 v[68:69], v[38:39], -v[34:35]
	v_add_f64 v[70:71], v[40:41], -v[36:37]
	;; [unrolled: 1-line block ×4, first 2 shown]
	v_add_f64 v[30:31], v[30:31], v[44:45]
	v_mov_b64_e32 v[72:73], v[28:29]
	v_add_f64 v[38:39], v[50:51], -v[38:39]
	v_add_f64 v[40:41], v[32:33], -v[40:41]
	v_add_f64 v[46:47], v[64:65], v[50:51]
	v_add_f64 v[32:33], v[66:67], v[32:33]
	v_mul_f64 v[48:49], v[54:55], s[2:3]
	v_mul_f64 v[50:51], v[56:57], s[2:3]
	;; [unrolled: 1-line block ×8, first 2 shown]
	v_fmac_f64_e32 v[72:73], s[12:13], v[42:43]
	v_mov_b64_e32 v[42:43], v[30:31]
	v_fmac_f64_e32 v[42:43], s[12:13], v[44:45]
	v_fma_f64 v[44:45], s[0:1], v[52:53], v[48:49]
	v_fma_f64 v[52:53], v[60:61], s[14:15], -v[54:55]
	v_fma_f64 v[54:55], v[62:63], s[14:15], -v[56:57]
	;; [unrolled: 1-line block ×4, first 2 shown]
	v_fmac_f64_e32 v[50:51], s[0:1], v[58:59]
	v_fma_f64 v[58:59], s[18:19], v[38:39], v[64:65]
	v_fma_f64 v[60:61], v[34:35], s[8:9], -v[64:65]
	v_fma_f64 v[62:63], v[36:37], s[8:9], -v[66:67]
	v_fmac_f64_e32 v[66:67], s[18:19], v[40:41]
	v_fma_f64 v[64:65], v[38:39], s[22:23], -v[68:69]
	v_fma_f64 v[68:69], v[40:41], s[22:23], -v[70:71]
	v_add_f64 v[70:71], v[44:45], v[72:73]
	v_add_f64 v[74:75], v[50:51], v[42:43]
	;; [unrolled: 1-line block ×6, first 2 shown]
	v_fmac_f64_e32 v[58:59], s[20:21], v[46:47]
	v_fmac_f64_e32 v[66:67], s[20:21], v[32:33]
	v_fmac_f64_e32 v[60:61], s[20:21], v[46:47]
	v_fmac_f64_e32 v[62:63], s[20:21], v[32:33]
	v_fmac_f64_e32 v[64:65], s[20:21], v[46:47]
	v_fmac_f64_e32 v[68:69], s[20:21], v[32:33]
	v_add_f64 v[32:33], v[66:67], v[70:71]
	v_add_f64 v[34:35], v[74:75], -v[58:59]
	v_add_f64 v[36:37], v[68:69], v[48:49]
	v_add_f64 v[38:39], v[52:53], -v[64:65]
	v_add_f64 v[40:41], v[44:45], -v[62:63]
	v_add_f64 v[42:43], v[60:61], v[50:51]
	v_add_f64 v[44:45], v[62:63], v[44:45]
	v_add_f64 v[46:47], v[50:51], -v[60:61]
	v_add_f64 v[48:49], v[48:49], -v[68:69]
	v_add_f64 v[50:51], v[64:65], v[52:53]
	v_add_f64 v[52:53], v[70:71], -v[66:67]
	v_add_f64 v[54:55], v[58:59], v[74:75]
	ds_write_b128 v109, v[28:31]
	ds_write_b128 v109, v[32:35] offset:224
	ds_write_b128 v109, v[36:39] offset:448
	;; [unrolled: 1-line block ×6, first 2 shown]
	s_waitcnt lgkmcnt(0)
	s_barrier
	ds_read_b128 v[28:31], v109
	v_mov_b32_e32 v76, v27
	v_mad_u64_u32 v[32:33], s[0:1], s7, v108, v[76:77]
	v_mov_b32_e32 v27, v32
	ds_read_b128 v[32:35], v109 offset:224
	s_waitcnt lgkmcnt(1)
	v_mul_f64 v[36:37], v[22:23], v[30:31]
	s_mov_b32 s0, 0xa72f0539
	v_mul_f64 v[22:23], v[22:23], v[28:29]
	v_fmac_f64_e32 v[36:37], v[20:21], v[28:29]
	s_mov_b32 s1, 0x3f84e5e0
	v_fma_f64 v[20:21], v[20:21], v[30:31], -v[22:23]
	v_mad_u64_u32 v[28:29], s[2:3], s4, v104, 0
	v_mul_f64 v[38:39], v[20:21], s[0:1]
	v_mov_b32_e32 v20, v29
	v_mad_u64_u32 v[20:21], s[2:3], s5, v104, v[20:21]
	v_mov_b32_e32 v29, v20
	ds_read_b128 v[20:23], v109 offset:784
	v_lshl_add_u64 v[24:25], v[26:27], 4, v[24:25]
	v_lshl_add_u64 v[40:41], v[28:29], 4, v[24:25]
	ds_read_b128 v[24:27], v109 offset:448
	s_mul_i32 s2, s5, 49
	s_waitcnt lgkmcnt(1)
	v_mul_f64 v[28:29], v[2:3], v[22:23]
	v_mul_f64 v[2:3], v[2:3], v[20:21]
	v_fmac_f64_e32 v[28:29], v[0:1], v[20:21]
	v_fma_f64 v[0:1], v[0:1], v[22:23], -v[2:3]
	v_mul_f64 v[30:31], v[0:1], s[0:1]
	v_mul_f64 v[0:1], v[10:11], v[34:35]
	;; [unrolled: 1-line block ×3, first 2 shown]
	s_mul_hi_u32 s3, s4, 49
	v_fmac_f64_e32 v[0:1], v[8:9], v[32:33]
	v_fma_f64 v[2:3], v[8:9], v[34:35], -v[2:3]
	s_mul_hi_u32 s8, s4, 0xffffffdd
	ds_read_b128 v[8:11], v109 offset:1008
	s_add_i32 s3, s3, s2
	s_mul_i32 s2, s4, 49
	s_mulk_i32 s5, 0xffdd
	s_sub_i32 s8, s8, s4
	s_lshl_b64 s[6:7], s[2:3], 4
	s_add_i32 s5, s8, s5
	s_mulk_i32 s4, 0xffdd
	v_mul_f64 v[36:37], v[36:37], s[0:1]
	v_mul_f64 v[28:29], v[28:29], s[0:1]
	v_lshl_add_u64 v[20:21], v[40:41], 0, s[6:7]
	s_lshl_b64 s[8:9], s[4:5], 4
	global_store_dwordx4 v[40:41], v[36:39], off
	global_store_dwordx4 v[20:21], v[28:31], off
	v_mul_f64 v[0:1], v[0:1], s[0:1]
	v_mul_f64 v[2:3], v[2:3], s[0:1]
	v_lshl_add_u64 v[28:29], v[20:21], 0, s[8:9]
	global_store_dwordx4 v[28:29], v[0:3], off
	ds_read_b128 v[0:3], v109 offset:1232
	s_waitcnt lgkmcnt(1)
	v_mul_f64 v[20:21], v[6:7], v[10:11]
	v_mul_f64 v[6:7], v[6:7], v[8:9]
	v_fmac_f64_e32 v[20:21], v[4:5], v[8:9]
	v_fma_f64 v[4:5], v[4:5], v[10:11], -v[6:7]
	v_mul_f64 v[22:23], v[4:5], s[0:1]
	v_mul_f64 v[4:5], v[14:15], v[26:27]
	;; [unrolled: 1-line block ×4, first 2 shown]
	v_lshl_add_u64 v[8:9], v[28:29], 0, s[6:7]
	v_fmac_f64_e32 v[4:5], v[12:13], v[24:25]
	v_fma_f64 v[6:7], v[12:13], v[26:27], -v[6:7]
	global_store_dwordx4 v[8:9], v[20:23], off
	v_mul_f64 v[4:5], v[4:5], s[0:1]
	v_mul_f64 v[6:7], v[6:7], s[0:1]
	v_lshl_add_u64 v[8:9], v[8:9], 0, s[8:9]
	global_store_dwordx4 v[8:9], v[4:7], off
	s_waitcnt lgkmcnt(0)
	s_nop 0
	v_mul_f64 v[4:5], v[18:19], v[2:3]
	v_fmac_f64_e32 v[4:5], v[16:17], v[0:1]
	v_mul_f64 v[0:1], v[18:19], v[0:1]
	v_fma_f64 v[0:1], v[16:17], v[2:3], -v[0:1]
	v_mul_f64 v[4:5], v[4:5], s[0:1]
	v_mul_f64 v[6:7], v[0:1], s[0:1]
	v_lshl_add_u64 v[0:1], v[8:9], 0, s[6:7]
	global_store_dwordx4 v[0:1], v[4:7], off
	s_and_b64 exec, exec, vcc
	s_cbranch_execz .LBB0_15
; %bb.14:
	global_load_dwordx4 v[2:5], v[106:107], off offset:672
	global_load_dwordx4 v[6:9], v[106:107], off offset:1456
	ds_read_b128 v[10:13], v109 offset:672
	ds_read_b128 v[14:17], v109 offset:1456
	v_lshl_add_u64 v[18:19], s[4:5], 4, v[0:1]
	v_lshl_add_u64 v[20:21], s[2:3], 4, v[18:19]
	s_waitcnt vmcnt(1) lgkmcnt(1)
	v_mul_f64 v[0:1], v[12:13], v[4:5]
	v_mul_f64 v[4:5], v[10:11], v[4:5]
	s_waitcnt vmcnt(0) lgkmcnt(0)
	v_mul_f64 v[22:23], v[16:17], v[8:9]
	v_mul_f64 v[8:9], v[14:15], v[8:9]
	v_fmac_f64_e32 v[0:1], v[10:11], v[2:3]
	v_fma_f64 v[2:3], v[2:3], v[12:13], -v[4:5]
	v_fmac_f64_e32 v[22:23], v[14:15], v[6:7]
	v_fma_f64 v[6:7], v[6:7], v[16:17], -v[8:9]
	v_mul_f64 v[0:1], v[0:1], s[0:1]
	v_mul_f64 v[2:3], v[2:3], s[0:1]
	v_mul_f64 v[4:5], v[22:23], s[0:1]
	v_mul_f64 v[6:7], v[6:7], s[0:1]
	global_store_dwordx4 v[18:19], v[0:3], off
	global_store_dwordx4 v[20:21], v[4:7], off
.LBB0_15:
	s_endpgm
	.section	.rodata,"a",@progbits
	.p2align	6, 0x0
	.amdhsa_kernel bluestein_single_fwd_len98_dim1_dp_op_CI_CI
		.amdhsa_group_segment_fixed_size 28224
		.amdhsa_private_segment_fixed_size 0
		.amdhsa_kernarg_size 104
		.amdhsa_user_sgpr_count 2
		.amdhsa_user_sgpr_dispatch_ptr 0
		.amdhsa_user_sgpr_queue_ptr 0
		.amdhsa_user_sgpr_kernarg_segment_ptr 1
		.amdhsa_user_sgpr_dispatch_id 0
		.amdhsa_user_sgpr_kernarg_preload_length 0
		.amdhsa_user_sgpr_kernarg_preload_offset 0
		.amdhsa_user_sgpr_private_segment_size 0
		.amdhsa_uses_dynamic_stack 0
		.amdhsa_enable_private_segment 0
		.amdhsa_system_sgpr_workgroup_id_x 1
		.amdhsa_system_sgpr_workgroup_id_y 0
		.amdhsa_system_sgpr_workgroup_id_z 0
		.amdhsa_system_sgpr_workgroup_info 0
		.amdhsa_system_vgpr_workitem_id 0
		.amdhsa_next_free_vgpr 130
		.amdhsa_next_free_sgpr 31
		.amdhsa_accum_offset 132
		.amdhsa_reserve_vcc 1
		.amdhsa_float_round_mode_32 0
		.amdhsa_float_round_mode_16_64 0
		.amdhsa_float_denorm_mode_32 3
		.amdhsa_float_denorm_mode_16_64 3
		.amdhsa_dx10_clamp 1
		.amdhsa_ieee_mode 1
		.amdhsa_fp16_overflow 0
		.amdhsa_tg_split 0
		.amdhsa_exception_fp_ieee_invalid_op 0
		.amdhsa_exception_fp_denorm_src 0
		.amdhsa_exception_fp_ieee_div_zero 0
		.amdhsa_exception_fp_ieee_overflow 0
		.amdhsa_exception_fp_ieee_underflow 0
		.amdhsa_exception_fp_ieee_inexact 0
		.amdhsa_exception_int_div_zero 0
	.end_amdhsa_kernel
	.text
.Lfunc_end0:
	.size	bluestein_single_fwd_len98_dim1_dp_op_CI_CI, .Lfunc_end0-bluestein_single_fwd_len98_dim1_dp_op_CI_CI
                                        ; -- End function
	.section	.AMDGPU.csdata,"",@progbits
; Kernel info:
; codeLenInByte = 6828
; NumSgprs: 37
; NumVgprs: 130
; NumAgprs: 0
; TotalNumVgprs: 130
; ScratchSize: 0
; MemoryBound: 0
; FloatMode: 240
; IeeeMode: 1
; LDSByteSize: 28224 bytes/workgroup (compile time only)
; SGPRBlocks: 4
; VGPRBlocks: 16
; NumSGPRsForWavesPerEU: 37
; NumVGPRsForWavesPerEU: 130
; AccumOffset: 132
; Occupancy: 3
; WaveLimiterHint : 1
; COMPUTE_PGM_RSRC2:SCRATCH_EN: 0
; COMPUTE_PGM_RSRC2:USER_SGPR: 2
; COMPUTE_PGM_RSRC2:TRAP_HANDLER: 0
; COMPUTE_PGM_RSRC2:TGID_X_EN: 1
; COMPUTE_PGM_RSRC2:TGID_Y_EN: 0
; COMPUTE_PGM_RSRC2:TGID_Z_EN: 0
; COMPUTE_PGM_RSRC2:TIDIG_COMP_CNT: 0
; COMPUTE_PGM_RSRC3_GFX90A:ACCUM_OFFSET: 32
; COMPUTE_PGM_RSRC3_GFX90A:TG_SPLIT: 0
	.text
	.p2alignl 6, 3212836864
	.fill 256, 4, 3212836864
	.type	__hip_cuid_269edcbb7130786,@object ; @__hip_cuid_269edcbb7130786
	.section	.bss,"aw",@nobits
	.globl	__hip_cuid_269edcbb7130786
__hip_cuid_269edcbb7130786:
	.byte	0                               ; 0x0
	.size	__hip_cuid_269edcbb7130786, 1

	.ident	"AMD clang version 19.0.0git (https://github.com/RadeonOpenCompute/llvm-project roc-6.4.0 25133 c7fe45cf4b819c5991fe208aaa96edf142730f1d)"
	.section	".note.GNU-stack","",@progbits
	.addrsig
	.addrsig_sym __hip_cuid_269edcbb7130786
	.amdgpu_metadata
---
amdhsa.kernels:
  - .agpr_count:     0
    .args:
      - .actual_access:  read_only
        .address_space:  global
        .offset:         0
        .size:           8
        .value_kind:     global_buffer
      - .actual_access:  read_only
        .address_space:  global
        .offset:         8
        .size:           8
        .value_kind:     global_buffer
      - .actual_access:  read_only
        .address_space:  global
        .offset:         16
        .size:           8
        .value_kind:     global_buffer
      - .actual_access:  read_only
        .address_space:  global
        .offset:         24
        .size:           8
        .value_kind:     global_buffer
      - .actual_access:  read_only
        .address_space:  global
        .offset:         32
        .size:           8
        .value_kind:     global_buffer
      - .offset:         40
        .size:           8
        .value_kind:     by_value
      - .address_space:  global
        .offset:         48
        .size:           8
        .value_kind:     global_buffer
      - .address_space:  global
        .offset:         56
        .size:           8
        .value_kind:     global_buffer
      - .address_space:  global
        .offset:         64
        .size:           8
        .value_kind:     global_buffer
      - .address_space:  global
        .offset:         72
        .size:           8
        .value_kind:     global_buffer
      - .offset:         80
        .size:           4
        .value_kind:     by_value
      - .address_space:  global
        .offset:         88
        .size:           8
        .value_kind:     global_buffer
      - .address_space:  global
        .offset:         96
        .size:           8
        .value_kind:     global_buffer
    .group_segment_fixed_size: 28224
    .kernarg_segment_align: 8
    .kernarg_segment_size: 104
    .language:       OpenCL C
    .language_version:
      - 2
      - 0
    .max_flat_workgroup_size: 252
    .name:           bluestein_single_fwd_len98_dim1_dp_op_CI_CI
    .private_segment_fixed_size: 0
    .sgpr_count:     37
    .sgpr_spill_count: 0
    .symbol:         bluestein_single_fwd_len98_dim1_dp_op_CI_CI.kd
    .uniform_work_group_size: 1
    .uses_dynamic_stack: false
    .vgpr_count:     130
    .vgpr_spill_count: 0
    .wavefront_size: 64
amdhsa.target:   amdgcn-amd-amdhsa--gfx950
amdhsa.version:
  - 1
  - 2
...

	.end_amdgpu_metadata
